;; amdgpu-corpus repo=zjin-lcf/HeCBench kind=compiled arch=gfx1250 opt=O3
	.amdgcn_target "amdgcn-amd-amdhsa--gfx1250"
	.amdhsa_code_object_version 6
	.section	.text._Z9minkowskiILi512ELi1024ELi2048EEvPKfS1_Pfff,"axG",@progbits,_Z9minkowskiILi512ELi1024ELi2048EEvPKfS1_Pfff,comdat
	.protected	_Z9minkowskiILi512ELi1024ELi2048EEvPKfS1_Pfff ; -- Begin function _Z9minkowskiILi512ELi1024ELi2048EEvPKfS1_Pfff
	.globl	_Z9minkowskiILi512ELi1024ELi2048EEvPKfS1_Pfff
	.p2align	8
	.type	_Z9minkowskiILi512ELi1024ELi2048EEvPKfS1_Pfff,@function
_Z9minkowskiILi512ELi1024ELi2048EEvPKfS1_Pfff: ; @_Z9minkowskiILi512ELi1024ELi2048EEvPKfS1_Pfff
; %bb.0:
	s_load_b32 s2, s[0:1], 0x2c
	s_bfe_u32 s4, ttmp6, 0x4000c
	s_bfe_u32 s5, ttmp6, 0x40010
	s_add_co_i32 s4, s4, 1
	s_add_co_i32 s5, s5, 1
	s_and_b32 s3, ttmp6, 15
	s_bfe_u32 s6, ttmp6, 0x40004
	s_mul_i32 s4, ttmp9, s4
	s_mul_i32 s5, ttmp7, s5
	s_getreg_b32 s7, hwreg(HW_REG_IB_STS2, 6, 4)
	v_and_b32_e32 v1, 0x3ff, v0
	v_bfe_u32 v0, v0, 10, 10
	s_add_co_i32 s3, s3, s4
	s_add_co_i32 s6, s6, s5
	s_wait_kmcnt 0x0
	s_lshr_b32 s4, s2, 16
	s_and_b32 s2, s2, 0xffff
	s_cmp_eq_u32 s7, 0
	s_cselect_b32 s3, ttmp9, s3
	s_cselect_b32 s5, ttmp7, s6
	v_mad_u32 v2, s3, s2, v1
	v_mad_u32 v3, s5, s4, v0
	s_delay_alu instid0(VALU_DEP_2) | instskip(NEXT) | instid1(VALU_DEP_2)
	v_cmp_gt_i32_e32 vcc_lo, 0x800, v2
	v_cmp_gt_i32_e64 s2, 0x200, v3
	s_and_b32 s2, vcc_lo, s2
	s_delay_alu instid0(SALU_CYCLE_1)
	s_and_saveexec_b32 s3, s2
	s_cbranch_execz .LBB0_4
; %bb.1:
	s_load_b256 s[4:11], s[0:1], 0x0
	v_dual_lshlrev_b32 v0, 10, v3 :: v_dual_mov_b32 v4, 0
	s_mov_b64 s[2:3], 0
	s_delay_alu instid0(VALU_DEP_1) | instskip(SKIP_1) | instid1(VALU_DEP_1)
	v_dual_mov_b32 v5, v2 :: v_dual_ashrrev_i32 v1, 31, v0
	s_wait_kmcnt 0x0
	v_lshl_add_u64 v[0:1], v[0:1], 2, s[4:5]
	s_mov_b32 s4, 0x3e76c4e1
.LBB0_2:                                ; =>This Inner Loop Header: Depth=1
	s_delay_alu instid0(VALU_DEP_1)
	v_add_nc_u64_e32 v[6:7], s[2:3], v[0:1]
	s_add_nc_u64 s[2:3], s[2:3], 4
	global_load_b32 v8, v5, s[6:7] scale_offset
	global_load_b32 v9, v[6:7], off
	s_wait_xcnt 0x1
	v_add_nc_u32_e32 v5, 0x800, v5
	s_wait_loadcnt 0x0
	v_sub_f32_e32 v7, v9, v8
	s_delay_alu instid0(VALU_DEP_1) | instskip(NEXT) | instid1(VALU_DEP_1)
	v_cmp_neq_f32_e64 s0, |v7|, 1.0
	v_cndmask_b32_e64 v6, 1.0, s10, s0
	s_delay_alu instid0(VALU_DEP_1) | instskip(SKIP_2) | instid1(VALU_DEP_1)
	v_cmp_neq_f32_e32 vcc_lo, 0, v6
	v_cmp_neq_f32_e64 s1, v6, |v6|
	v_cndmask_b32_e64 v7, 1.0, |v7|, vcc_lo
	v_frexp_mant_f32_e32 v10, v7
	v_cvt_f64_f32_e32 v[8:9], v7
	s_delay_alu instid0(VALU_DEP_2) | instskip(SKIP_1) | instid1(VALU_DEP_1)
	v_cmp_gt_f32_e32 vcc_lo, 0x3f2aaaab, v10
	v_cndmask_b32_e64 v11, 1.0, 2.0, vcc_lo
	v_mul_f32_e32 v10, v10, v11
	s_delay_alu instid0(VALU_DEP_1) | instskip(NEXT) | instid1(VALU_DEP_1)
	v_dual_add_f32 v13, 1.0, v10 :: v_dual_add_f32 v11, -1.0, v10
	v_rcp_f32_e32 v14, v13
	v_nop
	s_delay_alu instid0(TRANS32_DEP_1) | instskip(NEXT) | instid1(VALU_DEP_1)
	v_dual_add_f32 v12, -1.0, v13 :: v_dual_mul_f32 v15, v11, v14
	v_sub_f32_e32 v10, v10, v12
	v_frexp_exp_i32_f64_e32 v16, v[8:9]
	s_delay_alu instid0(VALU_DEP_3) | instskip(NEXT) | instid1(VALU_DEP_1)
	v_mul_f32_e32 v12, v13, v15
	v_fma_f32 v8, v15, v13, -v12
	s_delay_alu instid0(VALU_DEP_1) | instskip(NEXT) | instid1(VALU_DEP_1)
	v_fmac_f32_e32 v8, v15, v10
	v_add_f32_e32 v10, v12, v8
	s_delay_alu instid0(VALU_DEP_1) | instskip(NEXT) | instid1(VALU_DEP_1)
	v_dual_sub_f32 v13, v11, v10 :: v_dual_mov_b32 v9, v10
	v_pk_add_f32 v[10:11], v[10:11], v[12:13] neg_lo:[0,1] neg_hi:[0,1]
	s_delay_alu instid0(VALU_DEP_1) | instskip(SKIP_1) | instid1(VALU_DEP_2)
	v_pk_add_f32 v[8:9], v[10:11], v[8:9] neg_lo:[0,1] neg_hi:[0,1]
	v_subrev_co_ci_u32_e64 v10, null, 0, v16, vcc_lo
	v_add_f32_e32 v8, v8, v9
	s_delay_alu instid0(VALU_DEP_2) | instskip(NEXT) | instid1(VALU_DEP_2)
	v_cvt_f32_i32_e32 v9, v10
	v_add_f32_e32 v10, v13, v8
	s_delay_alu instid0(VALU_DEP_1) | instskip(NEXT) | instid1(VALU_DEP_1)
	v_mul_f32_e32 v13, v14, v10
	v_add_f32_e32 v12, v15, v13
	s_delay_alu instid0(VALU_DEP_4) | instskip(NEXT) | instid1(VALU_DEP_2)
	v_mul_f32_e32 v8, 0x3f317218, v9
	v_ldexp_f32 v11, v12, 1
	s_delay_alu instid0(VALU_DEP_2) | instskip(NEXT) | instid1(VALU_DEP_1)
	v_fma_f32 v10, 0x3f317218, v9, -v8
	v_dual_fmac_f32 v10, 0xb102e308, v9 :: v_dual_sub_f32 v9, v12, v15
	s_delay_alu instid0(VALU_DEP_1) | instskip(NEXT) | instid1(VALU_DEP_1)
	v_dual_mul_f32 v15, v12, v12 :: v_dual_sub_f32 v9, v13, v9
	v_dual_fma_f32 v13, v12, v12, -v15 :: v_dual_add_f32 v14, v9, v9
	v_ldexp_f32 v22, v9, 1
	s_delay_alu instid0(VALU_DEP_2) | instskip(NEXT) | instid1(VALU_DEP_1)
	v_fmac_f32_e32 v13, v12, v14
	v_add_f32_e32 v14, v15, v13
	s_delay_alu instid0(VALU_DEP_1) | instskip(NEXT) | instid1(VALU_DEP_1)
	v_dual_fmaak_f32 v16, s4, v14, 0x3e91f4c4 :: v_dual_sub_f32 v15, v14, v15
	v_dual_sub_f32 v23, v13, v15 :: v_dual_fmaak_f32 v16, v14, v16, 0x3ecccdef
	s_delay_alu instid0(VALU_DEP_1) | instskip(NEXT) | instid1(VALU_DEP_1)
	v_mul_f32_e32 v13, v14, v16
	v_fma_f32 v15, v14, v16, -v13
	s_delay_alu instid0(VALU_DEP_1) | instskip(NEXT) | instid1(VALU_DEP_1)
	v_fmac_f32_e32 v15, v23, v16
	v_add_f32_e32 v16, v13, v15
	s_delay_alu instid0(VALU_DEP_1) | instskip(NEXT) | instid1(VALU_DEP_1)
	v_sub_f32_e32 v13, v16, v13
	v_sub_f32_e32 v13, v15, v13
	v_add_f32_e32 v17, 0x3f2aaaaa, v16
	s_delay_alu instid0(VALU_DEP_2) | instskip(NEXT) | instid1(VALU_DEP_2)
	v_add_f32_e32 v13, 0x31739010, v13
	v_add_f32_e32 v15, 0xbf2aaaaa, v17
	s_delay_alu instid0(VALU_DEP_1) | instskip(NEXT) | instid1(VALU_DEP_1)
	v_sub_f32_e32 v15, v16, v15
	v_pk_mul_f32 v[18:19], v[12:13], v[14:15]
	s_delay_alu instid0(VALU_DEP_1) | instskip(SKIP_1) | instid1(VALU_DEP_1)
	v_fma_f32 v16, v14, v12, -v18
	v_pk_add_f32 v[20:21], v[12:13], v[14:15]
	v_dual_fmac_f32 v16, v14, v9 :: v_dual_mov_b32 v19, v21
	s_delay_alu instid0(VALU_DEP_1) | instskip(NEXT) | instid1(VALU_DEP_1)
	v_fmac_f32_e32 v16, v23, v12
	v_pk_add_f32 v[12:13], v[18:19], v[16:17]
	s_delay_alu instid0(VALU_DEP_1) | instskip(SKIP_1) | instid1(VALU_DEP_2)
	v_dual_mov_b32 v14, v13 :: v_dual_sub_f32 v9, v12, v18
	v_sub_f32_e32 v17, v17, v13
	v_pk_mul_f32 v[14:15], v[12:13], v[14:15]
	s_delay_alu instid0(VALU_DEP_3) | instskip(NEXT) | instid1(VALU_DEP_3)
	v_dual_sub_f32 v9, v16, v9 :: v_dual_mov_b32 v15, v11
	v_add_f32_e32 v17, v21, v17
	s_delay_alu instid0(VALU_DEP_3) | instskip(NEXT) | instid1(VALU_DEP_1)
	v_fma_f32 v16, v12, v13, -v14
	v_fmac_f32_e32 v16, v12, v17
	s_delay_alu instid0(VALU_DEP_1) | instskip(NEXT) | instid1(VALU_DEP_1)
	v_fmac_f32_e32 v16, v9, v13
	v_add_f32_e32 v9, v14, v16
	s_delay_alu instid0(VALU_DEP_1) | instskip(SKIP_1) | instid1(VALU_DEP_2)
	v_pk_add_f32 v[12:13], v[8:9], v[10:11]
	v_dual_mov_b32 v18, v9 :: v_dual_mov_b32 v17, v9
	v_dual_mov_b32 v19, v13 :: v_dual_mov_b32 v11, v12
	;; [unrolled: 1-line block ×3, first 2 shown]
	s_delay_alu instid0(VALU_DEP_2) | instskip(NEXT) | instid1(VALU_DEP_1)
	v_pk_add_f32 v[14:15], v[18:19], v[14:15] neg_lo:[0,1] neg_hi:[0,1]
	v_pk_add_f32 v[14:15], v[16:17], v[14:15] neg_lo:[0,1] neg_hi:[0,1]
	s_delay_alu instid0(VALU_DEP_1) | instskip(NEXT) | instid1(VALU_DEP_1)
	v_add_f32_e32 v9, v22, v14
	v_add_f32_e32 v9, v9, v15
	s_delay_alu instid0(VALU_DEP_1) | instskip(SKIP_1) | instid1(VALU_DEP_2)
	v_pk_add_f32 v[14:15], v[12:13], v[8:9]
	v_pk_add_f32 v[16:17], v[12:13], v[8:9] neg_lo:[0,1] neg_hi:[0,1]
	v_dual_mov_b32 v22, v9 :: v_dual_mov_b32 v17, v15
	s_delay_alu instid0(VALU_DEP_1) | instskip(SKIP_1) | instid1(VALU_DEP_2)
	v_pk_add_f32 v[8:9], v[10:11], v[16:17]
	v_pk_add_f32 v[10:11], v[10:11], v[16:17] neg_lo:[0,1] neg_hi:[0,1]
	v_dual_mov_b32 v8, v15 :: v_dual_mov_b32 v16, v9
	s_delay_alu instid0(VALU_DEP_1) | instskip(NEXT) | instid1(VALU_DEP_1)
	v_pk_add_f32 v[12:13], v[16:17], v[12:13] neg_lo:[0,1] neg_hi:[0,1]
	v_dual_mov_b32 v11, v9 :: v_dual_mov_b32 v21, v12
	v_mov_b32_e32 v13, v12
	s_delay_alu instid0(VALU_DEP_2) | instskip(NEXT) | instid1(VALU_DEP_2)
	v_pk_add_f32 v[8:9], v[8:9], v[20:21] neg_lo:[0,1] neg_hi:[0,1]
	v_pk_add_f32 v[12:13], v[14:15], v[12:13] neg_lo:[0,1] neg_hi:[0,1]
	v_mov_b32_e32 v12, v10
	s_delay_alu instid0(VALU_DEP_3) | instskip(NEXT) | instid1(VALU_DEP_1)
	v_pk_add_f32 v[8:9], v[22:23], v[8:9] neg_lo:[0,1] neg_hi:[0,1]
	v_pk_add_f32 v[12:13], v[12:13], v[8:9]
	s_delay_alu instid0(VALU_DEP_1) | instskip(NEXT) | instid1(VALU_DEP_1)
	v_mov_b32_e32 v14, v13
	v_pk_add_f32 v[14:15], v[12:13], v[14:15]
	s_delay_alu instid0(VALU_DEP_1) | instskip(NEXT) | instid1(VALU_DEP_1)
	v_pk_add_f32 v[16:17], v[16:17], v[14:15]
	v_dual_mov_b32 v9, v14 :: v_dual_mov_b32 v13, v16
	s_delay_alu instid0(VALU_DEP_1) | instskip(NEXT) | instid1(VALU_DEP_1)
	v_pk_add_f32 v[14:15], v[12:13], v[10:11] neg_lo:[0,1] neg_hi:[0,1]
	v_sub_f32_e32 v11, v12, v14
	s_delay_alu instid0(VALU_DEP_2) | instskip(NEXT) | instid1(VALU_DEP_2)
	v_pk_add_f32 v[8:9], v[8:9], v[14:15] neg_lo:[0,1] neg_hi:[0,1]
	v_sub_f32_e32 v10, v10, v11
	s_delay_alu instid0(VALU_DEP_1) | instskip(NEXT) | instid1(VALU_DEP_1)
	v_add_f32_e32 v8, v8, v10
	v_add_f32_e32 v8, v8, v9
	s_delay_alu instid0(VALU_DEP_1) | instskip(NEXT) | instid1(VALU_DEP_1)
	v_add_f32_e32 v9, v16, v8
	v_dual_sub_f32 v10, v9, v16 :: v_dual_mul_f32 v11, v6, v9
	s_delay_alu instid0(VALU_DEP_1) | instskip(NEXT) | instid1(VALU_DEP_2)
	v_sub_f32_e32 v8, v8, v10
	v_cmp_class_f32_e64 vcc_lo, v11, 0x204
	v_fma_f32 v9, v6, v9, -v11
	s_delay_alu instid0(VALU_DEP_1) | instskip(NEXT) | instid1(VALU_DEP_1)
	v_fmac_f32_e32 v9, v6, v8
	v_add_f32_e32 v8, v11, v9
	s_delay_alu instid0(VALU_DEP_1) | instskip(NEXT) | instid1(VALU_DEP_1)
	v_cndmask_b32_e32 v10, v8, v11, vcc_lo
	v_cmp_eq_f32_e32 vcc_lo, 0x42b17218, v10
	v_cndmask_b32_e64 v12, 0, 0x37000000, vcc_lo
	v_cmp_neq_f32_e64 vcc_lo, 0x7f800000, |v10|
	s_delay_alu instid0(VALU_DEP_2) | instskip(NEXT) | instid1(VALU_DEP_1)
	v_dual_sub_f32 v13, v10, v12 :: v_dual_sub_f32 v8, v8, v11
	v_mul_f32_e32 v14, 0x3fb8aa3b, v13
	v_cmp_nlt_f32_e64 s0, 0x42b17218, v13
	s_delay_alu instid0(VALU_DEP_3) | instskip(NEXT) | instid1(VALU_DEP_3)
	v_sub_f32_e32 v8, v9, v8
	v_fma_f32 v15, 0x3fb8aa3b, v13, -v14
	v_rndne_f32_e32 v16, v14
	s_delay_alu instid0(VALU_DEP_1) | instskip(SKIP_1) | instid1(VALU_DEP_2)
	v_dual_fmac_f32 v15, 0x32a5705f, v13 :: v_dual_sub_f32 v14, v14, v16
	v_cvt_i32_f32_e32 v11, v16
	v_add_f32_e32 v14, v14, v15
	s_delay_alu instid0(VALU_DEP_1) | instskip(SKIP_1) | instid1(TRANS32_DEP_1)
	v_exp_f32_e32 v14, v14
	v_nop
	v_ldexp_f32 v9, v14, v11
	v_cndmask_b32_e32 v8, 0, v8, vcc_lo
	v_cmp_ngt_f32_e32 vcc_lo, 0xc2ce8ed0, v13
	s_delay_alu instid0(VALU_DEP_3) | instskip(SKIP_1) | instid1(VALU_DEP_2)
	v_cndmask_b32_e32 v9, 0, v9, vcc_lo
	v_cmp_gt_f32_e32 vcc_lo, 1.0, v7
	v_cndmask_b32_e64 v9, 0x7f800000, v9, s0
	s_xor_b32 s1, s1, vcc_lo
	v_cmp_gt_f32_e64 s0, 0, v6
	v_cndmask_b32_e64 v10, 0x7f800000, 0, s1
	v_cmp_neq_f32_e64 s1, 1.0, v7
	v_add_f32_e32 v8, v12, v8
	v_cmp_eq_f32_e32 vcc_lo, 0, v7
	s_delay_alu instid0(VALU_DEP_2)
	v_dual_cndmask_b32 v10, 1.0, v10, s1 :: v_dual_fma_f32 v8, v9, v8, v9
	v_cmp_class_f32_e64 s1, v9, 0x204
	s_xor_b32 s0, s0, vcc_lo
	v_cndmask_b32_e64 v8, v8, v9, s1
	v_cndmask_b32_e64 v9, 0x7f800000, 0, s0
	v_cmp_class_f32_e64 s0, v6, 0x204
	v_cmp_eq_f32_e64 s1, 0x7f800000, v7
	s_delay_alu instid0(VALU_DEP_2) | instskip(SKIP_2) | instid1(VALU_DEP_1)
	v_cndmask_b32_e64 v8, |v8|, v10, s0
	s_or_b32 vcc_lo, vcc_lo, s1
	s_cmp_eq_u32 s2, 0x1000
	v_cndmask_b32_e32 v8, v8, v9, vcc_lo
	v_cmp_o_f32_e32 vcc_lo, v7, v6
	s_delay_alu instid0(VALU_DEP_2) | instskip(NEXT) | instid1(VALU_DEP_1)
	v_cndmask_b32_e32 v6, 0x7fc00000, v8, vcc_lo
	v_add_f32_e32 v4, v4, v6
	s_cbranch_scc0 .LBB0_2
; %bb.3:
	s_delay_alu instid0(VALU_DEP_1) | instskip(SKIP_2) | instid1(VALU_DEP_1)
	v_cmp_neq_f32_e32 vcc_lo, 1.0, v4
	s_mov_b32 s0, 0x3e76c4e1
	v_cndmask_b32_e64 v0, 1.0, s11, vcc_lo
	v_cmp_neq_f32_e32 vcc_lo, 0, v0
	v_cmp_neq_f32_e64 s3, v0, |v0|
	v_cndmask_b32_e32 v1, 1.0, v4, vcc_lo
	s_delay_alu instid0(VALU_DEP_1) | instskip(NEXT) | instid1(VALU_DEP_1)
	v_frexp_mant_f32_e64 v4, |v1|
	v_cmp_gt_f32_e32 vcc_lo, 0x3f2aaaab, v4
	v_cndmask_b32_e64 v5, 1.0, 2.0, vcc_lo
	s_delay_alu instid0(VALU_DEP_1) | instskip(SKIP_2) | instid1(VALU_DEP_3)
	v_mul_f32_e32 v4, v4, v5
	v_cmp_lt_f32_e64 s4, |v1|, 1.0
	v_cmp_eq_f32_e64 s2, 0, v1
	v_dual_add_f32 v7, 1.0, v4 :: v_dual_add_f32 v5, -1.0, v4
	s_xor_b32 s3, s3, s4
	s_delay_alu instid0(VALU_DEP_1)
	v_rcp_f32_e32 v10, v7
	v_add_f32_e32 v8, -1.0, v7
	s_delay_alu instid0(TRANS32_DEP_1) | instid1(VALU_DEP_1)
	v_dual_sub_f32 v4, v4, v8 :: v_dual_mul_f32 v11, v5, v10
	s_delay_alu instid0(VALU_DEP_1) | instskip(NEXT) | instid1(VALU_DEP_1)
	v_mul_f32_e32 v6, v7, v11
	v_fma_f32 v8, v11, v7, -v6
	s_delay_alu instid0(VALU_DEP_1) | instskip(NEXT) | instid1(VALU_DEP_1)
	v_fmac_f32_e32 v8, v11, v4
	v_add_f32_e32 v4, v6, v8
	s_delay_alu instid0(VALU_DEP_1) | instskip(NEXT) | instid1(VALU_DEP_1)
	v_dual_sub_f32 v7, v5, v4 :: v_dual_mov_b32 v9, v4
	v_pk_add_f32 v[4:5], v[4:5], v[6:7] neg_lo:[0,1] neg_hi:[0,1]
	s_delay_alu instid0(VALU_DEP_1) | instskip(NEXT) | instid1(VALU_DEP_1)
	v_pk_add_f32 v[4:5], v[4:5], v[8:9] neg_lo:[0,1] neg_hi:[0,1]
	v_add_f32_e32 v4, v4, v5
	s_delay_alu instid0(VALU_DEP_1) | instskip(NEXT) | instid1(VALU_DEP_1)
	v_add_f32_e32 v4, v7, v4
	v_mul_f32_e32 v5, v10, v4
	s_delay_alu instid0(VALU_DEP_1) | instskip(NEXT) | instid1(VALU_DEP_1)
	v_add_f32_e32 v4, v11, v5
	v_sub_f32_e32 v6, v4, v11
	s_delay_alu instid0(VALU_DEP_1) | instskip(NEXT) | instid1(VALU_DEP_1)
	v_sub_f32_e32 v16, v5, v6
	v_add_f32_e32 v6, v16, v16
	v_mul_f32_e32 v7, v4, v4
	s_delay_alu instid0(VALU_DEP_1) | instskip(NEXT) | instid1(VALU_DEP_1)
	v_fma_f32 v5, v4, v4, -v7
	v_fmac_f32_e32 v5, v4, v6
	s_delay_alu instid0(VALU_DEP_1) | instskip(NEXT) | instid1(VALU_DEP_1)
	v_add_f32_e32 v6, v7, v5
	v_dual_fmaak_f32 v8, s0, v6, 0x3e91f4c4 :: v_dual_sub_f32 v7, v6, v7
	s_delay_alu instid0(VALU_DEP_1) | instskip(SKIP_1) | instid1(VALU_DEP_2)
	v_fmaak_f32 v10, v6, v8, 0x3ecccdef
	v_cvt_f64_f32_e64 v[8:9], |v1|
	v_dual_mul_f32 v11, v6, v10 :: v_dual_sub_f32 v14, v5, v7
	s_delay_alu instid0(VALU_DEP_1) | instskip(NEXT) | instid1(VALU_DEP_1)
	v_fma_f32 v5, v6, v10, -v11
	v_fmac_f32_e32 v5, v14, v10
	s_delay_alu instid0(VALU_DEP_1) | instskip(NEXT) | instid1(VALU_DEP_1)
	v_add_f32_e32 v7, v11, v5
	v_sub_f32_e32 v10, v7, v11
	v_add_f32_e32 v11, 0x3f2aaaaa, v7
	s_delay_alu instid0(VALU_DEP_1) | instskip(SKIP_1) | instid1(VALU_DEP_2)
	v_dual_sub_f32 v5, v5, v10 :: v_dual_add_f32 v10, 0xbf2aaaaa, v11
	v_frexp_exp_i32_f64_e32 v15, v[8:9]
	v_add_f32_e32 v5, 0x31739010, v5
	s_delay_alu instid0(VALU_DEP_3) | instskip(NEXT) | instid1(VALU_DEP_1)
	v_sub_f32_e32 v7, v7, v10
	v_pk_mul_f32 v[8:9], v[4:5], v[6:7]
	s_delay_alu instid0(VALU_DEP_1) | instskip(NEXT) | instid1(VALU_DEP_1)
	v_fma_f32 v10, v6, v4, -v8
	v_fmac_f32_e32 v10, v6, v16
	s_delay_alu instid0(VALU_DEP_1) | instskip(SKIP_1) | instid1(VALU_DEP_1)
	v_fmac_f32_e32 v10, v14, v4
	v_pk_add_f32 v[12:13], v[4:5], v[6:7]
	v_mov_b32_e32 v9, v13
	v_subrev_co_ci_u32_e64 v5, null, 0, v15, vcc_lo
	s_delay_alu instid0(VALU_DEP_2) | instskip(NEXT) | instid1(VALU_DEP_2)
	v_pk_add_f32 v[6:7], v[8:9], v[10:11]
	v_cvt_f32_i32_e32 v5, v5
	s_delay_alu instid0(VALU_DEP_2) | instskip(NEXT) | instid1(VALU_DEP_3)
	v_mov_b32_e32 v12, v7
	v_dual_sub_f32 v9, v11, v7 :: v_dual_sub_f32 v11, v6, v8
	s_delay_alu instid0(VALU_DEP_2) | instskip(NEXT) | instid1(VALU_DEP_2)
	v_pk_mul_f32 v[14:15], v[6:7], v[12:13]
	v_sub_f32_e32 v10, v10, v11
	s_delay_alu instid0(VALU_DEP_2) | instskip(NEXT) | instid1(VALU_DEP_1)
	v_dual_fma_f32 v8, v6, v7, -v14 :: v_dual_add_f32 v9, v13, v9
	v_fmac_f32_e32 v8, v6, v9
	s_delay_alu instid0(VALU_DEP_1) | instskip(SKIP_2) | instid1(VALU_DEP_3)
	v_fmac_f32_e32 v8, v10, v7
	v_mul_f32_e32 v12, 0x3f317218, v5
	v_ldexp_f32 v7, v4, 1
	v_add_f32_e32 v13, v14, v8
	s_delay_alu instid0(VALU_DEP_3) | instskip(NEXT) | instid1(VALU_DEP_2)
	v_fma_f32 v6, 0x3f317218, v5, -v12
	v_dual_mov_b32 v15, v7 :: v_dual_mov_b32 v10, v13
	s_delay_alu instid0(VALU_DEP_2) | instskip(NEXT) | instid1(VALU_DEP_1)
	v_fmamk_f32 v6, v5, 0xb102e308, v6
	v_pk_add_f32 v[4:5], v[12:13], v[6:7]
	v_ldexp_f32 v7, v16, 1
	s_delay_alu instid0(VALU_DEP_2) | instskip(NEXT) | instid1(VALU_DEP_1)
	v_dual_mov_b32 v9, v13 :: v_dual_mov_b32 v11, v5
	v_pk_add_f32 v[10:11], v[10:11], v[14:15] neg_lo:[0,1] neg_hi:[0,1]
	s_delay_alu instid0(VALU_DEP_1) | instskip(NEXT) | instid1(VALU_DEP_1)
	v_pk_add_f32 v[8:9], v[8:9], v[10:11] neg_lo:[0,1] neg_hi:[0,1]
	v_add_f32_e32 v7, v7, v8
	s_delay_alu instid0(VALU_DEP_1) | instskip(NEXT) | instid1(VALU_DEP_1)
	v_dual_add_f32 v13, v7, v9 :: v_dual_mov_b32 v7, v4
	v_pk_add_f32 v[8:9], v[4:5], v[12:13]
	v_pk_add_f32 v[10:11], v[4:5], v[12:13] neg_lo:[0,1] neg_hi:[0,1]
	s_delay_alu instid0(VALU_DEP_2) | instskip(NEXT) | instid1(VALU_DEP_1)
	v_dual_mov_b32 v18, v5 :: v_dual_mov_b32 v11, v9
	v_pk_add_f32 v[14:15], v[6:7], v[10:11]
	s_delay_alu instid0(VALU_DEP_1) | instskip(SKIP_1) | instid1(VALU_DEP_2)
	v_dual_mov_b32 v14, v9 :: v_dual_mov_b32 v12, v15
	v_pk_add_f32 v[6:7], v[6:7], v[10:11] neg_lo:[0,1] neg_hi:[0,1]
	v_pk_add_f32 v[16:17], v[12:13], v[4:5] neg_lo:[0,1] neg_hi:[0,1]
	v_dual_mov_b32 v5, v4 :: v_dual_mov_b32 v4, v13
	s_delay_alu instid0(VALU_DEP_2) | instskip(NEXT) | instid1(VALU_DEP_1)
	v_dual_mov_b32 v13, v16 :: v_dual_mov_b32 v19, v16
	v_pk_add_f32 v[8:9], v[8:9], v[12:13] neg_lo:[0,1] neg_hi:[0,1]
	s_delay_alu instid0(VALU_DEP_2) | instskip(SKIP_1) | instid1(VALU_DEP_2)
	v_pk_add_f32 v[10:11], v[14:15], v[18:19] neg_lo:[0,1] neg_hi:[0,1]
	v_mov_b32_e32 v8, v6
	v_pk_add_f32 v[4:5], v[4:5], v[10:11] neg_lo:[0,1] neg_hi:[0,1]
	s_delay_alu instid0(VALU_DEP_1) | instskip(NEXT) | instid1(VALU_DEP_1)
	v_pk_add_f32 v[8:9], v[8:9], v[4:5]
	v_mov_b32_e32 v10, v9
	s_delay_alu instid0(VALU_DEP_1) | instskip(NEXT) | instid1(VALU_DEP_1)
	v_pk_add_f32 v[10:11], v[8:9], v[10:11]
	v_pk_add_f32 v[12:13], v[12:13], v[10:11]
	s_delay_alu instid0(VALU_DEP_1) | instskip(NEXT) | instid1(VALU_DEP_1)
	v_dual_mov_b32 v7, v15 :: v_dual_mov_b32 v9, v12
	v_pk_add_f32 v[14:15], v[8:9], v[6:7] neg_lo:[0,1] neg_hi:[0,1]
	s_delay_alu instid0(VALU_DEP_1) | instskip(NEXT) | instid1(VALU_DEP_1)
	v_dual_mov_b32 v5, v10 :: v_dual_sub_f32 v7, v8, v14
	v_pk_add_f32 v[4:5], v[4:5], v[14:15] neg_lo:[0,1] neg_hi:[0,1]
	s_delay_alu instid0(VALU_DEP_2) | instskip(NEXT) | instid1(VALU_DEP_1)
	v_sub_f32_e32 v6, v6, v7
	v_add_f32_e32 v4, v4, v6
	s_delay_alu instid0(VALU_DEP_1) | instskip(NEXT) | instid1(VALU_DEP_1)
	v_add_f32_e32 v4, v4, v5
	v_add_f32_e32 v5, v12, v4
	s_delay_alu instid0(VALU_DEP_1) | instskip(NEXT) | instid1(VALU_DEP_1)
	v_sub_f32_e32 v6, v5, v12
	v_sub_f32_e32 v4, v4, v6
	v_mul_f32_e32 v7, v0, v5
	s_delay_alu instid0(VALU_DEP_1) | instskip(NEXT) | instid1(VALU_DEP_1)
	v_fma_f32 v5, v0, v5, -v7
	v_fmac_f32_e32 v5, v0, v4
	v_cmp_class_f32_e64 vcc_lo, v7, 0x204
	s_delay_alu instid0(VALU_DEP_2) | instskip(NEXT) | instid1(VALU_DEP_1)
	v_add_f32_e32 v4, v7, v5
	v_cndmask_b32_e32 v6, v4, v7, vcc_lo
	s_delay_alu instid0(VALU_DEP_1) | instskip(NEXT) | instid1(VALU_DEP_4)
	v_cmp_eq_f32_e32 vcc_lo, 0x42b17218, v6
	v_cndmask_b32_e64 v8, 0, 0x37000000, vcc_lo
	s_delay_alu instid0(VALU_DEP_1) | instskip(NEXT) | instid1(VALU_DEP_1)
	v_sub_f32_e32 v9, v6, v8
	v_mul_f32_e32 v10, 0x3fb8aa3b, v9
	s_delay_alu instid0(VALU_DEP_1) | instskip(SKIP_1) | instid1(VALU_DEP_1)
	v_fma_f32 v11, 0x3fb8aa3b, v9, -v10
	v_rndne_f32_e32 v12, v10
	v_dual_fmamk_f32 v11, v9, 0x32a5705f, v11 :: v_dual_sub_f32 v10, v10, v12
	v_sub_f32_e32 v4, v4, v7
	v_cmp_neq_f32_e64 vcc_lo, 0x7f800000, |v6|
	v_trunc_f32_e32 v6, v0
	s_delay_alu instid0(VALU_DEP_3) | instskip(NEXT) | instid1(VALU_DEP_1)
	v_dual_add_f32 v10, v10, v11 :: v_dual_sub_f32 v4, v5, v4
	v_exp_f32_e32 v7, v10
	v_nop
	v_cvt_i32_f32_e32 v10, v12
	s_delay_alu instid0(VALU_DEP_3)
	v_cndmask_b32_e32 v4, 0, v4, vcc_lo
	v_cmp_ngt_f32_e32 vcc_lo, 0xc2ce8ed0, v9
	s_delay_alu instid0(TRANS32_DEP_1) | instid1(VALU_DEP_3)
	v_ldexp_f32 v5, v7, v10
	s_delay_alu instid0(VALU_DEP_1) | instskip(NEXT) | instid1(VALU_DEP_1)
	v_dual_mul_f32 v7, 0.5, v0 :: v_dual_cndmask_b32 v5, 0, v5, vcc_lo
	v_trunc_f32_e32 v10, v7
	v_cmp_nlt_f32_e32 vcc_lo, 0x42b17218, v9
	s_delay_alu instid0(VALU_DEP_2) | instskip(NEXT) | instid1(VALU_DEP_4)
	v_cmp_neq_f32_e64 s0, v10, v7
	v_cndmask_b32_e32 v5, 0x7f800000, v5, vcc_lo
	v_cmp_eq_f32_e32 vcc_lo, v6, v0
	s_delay_alu instid0(VALU_DEP_2) | instskip(SKIP_1) | instid1(SALU_CYCLE_1)
	v_cmp_class_f32_e64 s1, v5, 0x204
	s_and_b32 s0, vcc_lo, s0
	v_dual_cndmask_b32 v6, 1.0, v1, s0 :: v_dual_add_f32 v4, v8, v4
	v_cndmask_b32_e64 v8, 0, v1, s0
	v_cmp_class_f32_e64 s0, v1, 0x204
	s_delay_alu instid0(VALU_DEP_3) | instskip(NEXT) | instid1(VALU_DEP_1)
	v_fma_f32 v4, v5, v4, v5
	v_cndmask_b32_e64 v4, v4, v5, s1
	v_cndmask_b32_e64 v5, 0x7f800000, 0, s3
	v_cmp_gt_f32_e64 s1, 0, v0
	s_delay_alu instid0(VALU_DEP_3) | instskip(SKIP_1) | instid1(SALU_CYCLE_1)
	v_bfi_b32 v4, 0x7fffffff, v4, v6
	s_xor_b32 s1, s1, s2
	v_cndmask_b32_e64 v6, 0x7f800000, 0, s1
	s_delay_alu instid0(VALU_DEP_2) | instskip(SKIP_1) | instid1(VALU_DEP_3)
	v_cndmask_b32_e32 v7, 0x7fc00000, v4, vcc_lo
	v_cmp_neq_f32_e64 vcc_lo, |v1|, 1.0
	v_bfi_b32 v6, 0x7fffffff, v6, v8
	v_cndmask_b32_e32 v5, 1.0, v5, vcc_lo
	v_cmp_gt_f32_e32 vcc_lo, 0, v1
	v_cndmask_b32_e32 v4, v4, v7, vcc_lo
	v_cmp_class_f32_e64 vcc_lo, v0, 0x204
	s_delay_alu instid0(VALU_DEP_2) | instskip(SKIP_1) | instid1(VALU_DEP_1)
	v_cndmask_b32_e32 v4, v4, v5, vcc_lo
	s_or_b32 vcc_lo, s2, s0
	v_cndmask_b32_e32 v4, v4, v6, vcc_lo
	v_cmp_o_f32_e32 vcc_lo, v1, v0
	v_lshl_add_u32 v1, v3, 11, v2
	s_delay_alu instid0(VALU_DEP_3)
	v_cndmask_b32_e32 v0, 0x7fc00000, v4, vcc_lo
	global_store_b32 v1, v0, s[8:9] scale_offset
.LBB0_4:
	s_endpgm
	.section	.rodata,"a",@progbits
	.p2align	6, 0x0
	.amdhsa_kernel _Z9minkowskiILi512ELi1024ELi2048EEvPKfS1_Pfff
		.amdhsa_group_segment_fixed_size 0
		.amdhsa_private_segment_fixed_size 0
		.amdhsa_kernarg_size 288
		.amdhsa_user_sgpr_count 2
		.amdhsa_user_sgpr_dispatch_ptr 0
		.amdhsa_user_sgpr_queue_ptr 0
		.amdhsa_user_sgpr_kernarg_segment_ptr 1
		.amdhsa_user_sgpr_dispatch_id 0
		.amdhsa_user_sgpr_kernarg_preload_length 0
		.amdhsa_user_sgpr_kernarg_preload_offset 0
		.amdhsa_user_sgpr_private_segment_size 0
		.amdhsa_wavefront_size32 1
		.amdhsa_uses_dynamic_stack 0
		.amdhsa_enable_private_segment 0
		.amdhsa_system_sgpr_workgroup_id_x 1
		.amdhsa_system_sgpr_workgroup_id_y 1
		.amdhsa_system_sgpr_workgroup_id_z 0
		.amdhsa_system_sgpr_workgroup_info 0
		.amdhsa_system_vgpr_workitem_id 1
		.amdhsa_next_free_vgpr 24
		.amdhsa_next_free_sgpr 12
		.amdhsa_named_barrier_count 0
		.amdhsa_reserve_vcc 1
		.amdhsa_float_round_mode_32 0
		.amdhsa_float_round_mode_16_64 0
		.amdhsa_float_denorm_mode_32 3
		.amdhsa_float_denorm_mode_16_64 3
		.amdhsa_fp16_overflow 0
		.amdhsa_memory_ordered 1
		.amdhsa_forward_progress 1
		.amdhsa_inst_pref_size 23
		.amdhsa_round_robin_scheduling 0
		.amdhsa_exception_fp_ieee_invalid_op 0
		.amdhsa_exception_fp_denorm_src 0
		.amdhsa_exception_fp_ieee_div_zero 0
		.amdhsa_exception_fp_ieee_overflow 0
		.amdhsa_exception_fp_ieee_underflow 0
		.amdhsa_exception_fp_ieee_inexact 0
		.amdhsa_exception_int_div_zero 0
	.end_amdhsa_kernel
	.section	.text._Z9minkowskiILi512ELi1024ELi2048EEvPKfS1_Pfff,"axG",@progbits,_Z9minkowskiILi512ELi1024ELi2048EEvPKfS1_Pfff,comdat
.Lfunc_end0:
	.size	_Z9minkowskiILi512ELi1024ELi2048EEvPKfS1_Pfff, .Lfunc_end0-_Z9minkowskiILi512ELi1024ELi2048EEvPKfS1_Pfff
                                        ; -- End function
	.set _Z9minkowskiILi512ELi1024ELi2048EEvPKfS1_Pfff.num_vgpr, 24
	.set _Z9minkowskiILi512ELi1024ELi2048EEvPKfS1_Pfff.num_agpr, 0
	.set _Z9minkowskiILi512ELi1024ELi2048EEvPKfS1_Pfff.numbered_sgpr, 12
	.set _Z9minkowskiILi512ELi1024ELi2048EEvPKfS1_Pfff.num_named_barrier, 0
	.set _Z9minkowskiILi512ELi1024ELi2048EEvPKfS1_Pfff.private_seg_size, 0
	.set _Z9minkowskiILi512ELi1024ELi2048EEvPKfS1_Pfff.uses_vcc, 1
	.set _Z9minkowskiILi512ELi1024ELi2048EEvPKfS1_Pfff.uses_flat_scratch, 0
	.set _Z9minkowskiILi512ELi1024ELi2048EEvPKfS1_Pfff.has_dyn_sized_stack, 0
	.set _Z9minkowskiILi512ELi1024ELi2048EEvPKfS1_Pfff.has_recursion, 0
	.set _Z9minkowskiILi512ELi1024ELi2048EEvPKfS1_Pfff.has_indirect_call, 0
	.section	.AMDGPU.csdata,"",@progbits
; Kernel info:
; codeLenInByte = 2872
; TotalNumSgprs: 14
; NumVgprs: 24
; ScratchSize: 0
; MemoryBound: 0
; FloatMode: 240
; IeeeMode: 1
; LDSByteSize: 0 bytes/workgroup (compile time only)
; SGPRBlocks: 0
; VGPRBlocks: 1
; NumSGPRsForWavesPerEU: 14
; NumVGPRsForWavesPerEU: 24
; NamedBarCnt: 0
; Occupancy: 16
; WaveLimiterHint : 0
; COMPUTE_PGM_RSRC2:SCRATCH_EN: 0
; COMPUTE_PGM_RSRC2:USER_SGPR: 2
; COMPUTE_PGM_RSRC2:TRAP_HANDLER: 0
; COMPUTE_PGM_RSRC2:TGID_X_EN: 1
; COMPUTE_PGM_RSRC2:TGID_Y_EN: 1
; COMPUTE_PGM_RSRC2:TGID_Z_EN: 0
; COMPUTE_PGM_RSRC2:TIDIG_COMP_CNT: 1
	.section	.AMDGPU.gpr_maximums,"",@progbits
	.set amdgpu.max_num_vgpr, 0
	.set amdgpu.max_num_agpr, 0
	.set amdgpu.max_num_sgpr, 0
	.section	.AMDGPU.csdata,"",@progbits
	.type	__hip_cuid_a3b18a268d9946a1,@object ; @__hip_cuid_a3b18a268d9946a1
	.section	.bss,"aw",@nobits
	.globl	__hip_cuid_a3b18a268d9946a1
__hip_cuid_a3b18a268d9946a1:
	.byte	0                               ; 0x0
	.size	__hip_cuid_a3b18a268d9946a1, 1

	.ident	"AMD clang version 22.0.0git (https://github.com/RadeonOpenCompute/llvm-project roc-7.2.4 26084 f58b06dce1f9c15707c5f808fd002e18c2accf7e)"
	.section	".note.GNU-stack","",@progbits
	.addrsig
	.addrsig_sym __hip_cuid_a3b18a268d9946a1
	.amdgpu_metadata
---
amdhsa.kernels:
  - .args:
      - .actual_access:  read_only
        .address_space:  global
        .offset:         0
        .size:           8
        .value_kind:     global_buffer
      - .actual_access:  read_only
        .address_space:  global
        .offset:         8
        .size:           8
        .value_kind:     global_buffer
      - .actual_access:  write_only
        .address_space:  global
        .offset:         16
        .size:           8
        .value_kind:     global_buffer
      - .offset:         24
        .size:           4
        .value_kind:     by_value
      - .offset:         28
        .size:           4
        .value_kind:     by_value
      - .offset:         32
        .size:           4
        .value_kind:     hidden_block_count_x
      - .offset:         36
        .size:           4
        .value_kind:     hidden_block_count_y
      - .offset:         40
        .size:           4
        .value_kind:     hidden_block_count_z
      - .offset:         44
        .size:           2
        .value_kind:     hidden_group_size_x
      - .offset:         46
        .size:           2
        .value_kind:     hidden_group_size_y
      - .offset:         48
        .size:           2
        .value_kind:     hidden_group_size_z
      - .offset:         50
        .size:           2
        .value_kind:     hidden_remainder_x
      - .offset:         52
        .size:           2
        .value_kind:     hidden_remainder_y
      - .offset:         54
        .size:           2
        .value_kind:     hidden_remainder_z
      - .offset:         72
        .size:           8
        .value_kind:     hidden_global_offset_x
      - .offset:         80
        .size:           8
        .value_kind:     hidden_global_offset_y
      - .offset:         88
        .size:           8
        .value_kind:     hidden_global_offset_z
      - .offset:         96
        .size:           2
        .value_kind:     hidden_grid_dims
    .group_segment_fixed_size: 0
    .kernarg_segment_align: 8
    .kernarg_segment_size: 288
    .language:       OpenCL C
    .language_version:
      - 2
      - 0
    .max_flat_workgroup_size: 1024
    .name:           _Z9minkowskiILi512ELi1024ELi2048EEvPKfS1_Pfff
    .private_segment_fixed_size: 0
    .sgpr_count:     14
    .sgpr_spill_count: 0
    .symbol:         _Z9minkowskiILi512ELi1024ELi2048EEvPKfS1_Pfff.kd
    .uniform_work_group_size: 1
    .uses_dynamic_stack: false
    .vgpr_count:     24
    .vgpr_spill_count: 0
    .wavefront_size: 32
amdhsa.target:   amdgcn-amd-amdhsa--gfx1250
amdhsa.version:
  - 1
  - 2
...

	.end_amdgpu_metadata
